;; amdgpu-corpus repo=llvm/llvm-project kind=harvested arch=n/a opt=n/a
// NOTE: Assertions have been autogenerated by utils/update_mc_test_checks.py UTC_ARGS: --unique --sort --version 6
// RUN: llvm-mc -triple=amdgcn -mcpu=gfx900 -show-encoding %s | FileCheck %s

exp mrt0 off, off, off, off
// CHECK: exp mrt0, off, off, off, off            ; encoding: [0x00,0x00,0x00,0xc4,0x00,0x00,0x00,0x00]

exp mrt0 off, off, off, v0
// CHECK: exp mrt0, off, off, off, v0             ; encoding: [0x08,0x00,0x00,0xc4,0x00,0x00,0x00,0x00]

exp mrt0 off, off, v0, off
// CHECK: exp mrt0, off, off, v0, off             ; encoding: [0x04,0x00,0x00,0xc4,0x00,0x00,0x00,0x00]

exp mrt0 off, off, v0, v0
// CHECK: exp mrt0, off, off, v0, v0              ; encoding: [0x0c,0x00,0x00,0xc4,0x00,0x00,0x00,0x00]

exp mrt0 off, v0, off, off
// CHECK: exp mrt0, off, v0, off, off             ; encoding: [0x02,0x00,0x00,0xc4,0x00,0x00,0x00,0x00]

exp mrt0 off, v0, off, v0
// CHECK: exp mrt0, off, v0, off, v0              ; encoding: [0x0a,0x00,0x00,0xc4,0x00,0x00,0x00,0x00]

exp mrt0 off, v0, v0, off
// CHECK: exp mrt0, off, v0, v0, off              ; encoding: [0x06,0x00,0x00,0xc4,0x00,0x00,0x00,0x00]

exp mrt0 off, v0, v0, v0
// CHECK: exp mrt0, off, v0, v0, v0               ; encoding: [0x0e,0x00,0x00,0xc4,0x00,0x00,0x00,0x00]

exp mrt0 v0, off, off, off
// CHECK: exp mrt0, v0, off, off, off             ; encoding: [0x01,0x00,0x00,0xc4,0x00,0x00,0x00,0x00]

exp mrt0 v0, off, off, v0
// CHECK: exp mrt0, v0, off, off, v0              ; encoding: [0x09,0x00,0x00,0xc4,0x00,0x00,0x00,0x00]

exp mrt0 v0, off, v0, off
// CHECK: exp mrt0, v0, off, v0, off              ; encoding: [0x05,0x00,0x00,0xc4,0x00,0x00,0x00,0x00]

exp mrt0 v0, off, v0, v0
// CHECK: exp mrt0, v0, off, v0, v0               ; encoding: [0x0d,0x00,0x00,0xc4,0x00,0x00,0x00,0x00]

exp mrt0 v0, v0, off, off
// CHECK: exp mrt0, v0, v0, off, off              ; encoding: [0x03,0x00,0x00,0xc4,0x00,0x00,0x00,0x00]

exp mrt0 v0, v0, off, v0
// CHECK: exp mrt0, v0, v0, off, v0               ; encoding: [0x0b,0x00,0x00,0xc4,0x00,0x00,0x00,0x00]

exp mrt0 v0, v0, v0, off
// CHECK: exp mrt0, v0, v0, v0, off               ; encoding: [0x07,0x00,0x00,0xc4,0x00,0x00,0x00,0x00]

exp mrt0 v0, v0, v0, v0
// CHECK: exp mrt0, v0, v0, v0, v0                ; encoding: [0x0f,0x00,0x00,0xc4,0x00,0x00,0x00,0x00]

exp mrt0 v0, v0, v0, v0 compr
// CHECK: exp mrt0, v0, v0, v0, v0 compr          ; encoding: [0x0f,0x04,0x00,0xc4,0x00,0x00,0x00,0x00]

exp mrt0 v0, v0, v0, v0 done
// CHECK: exp mrt0, v0, v0, v0, v0 done           ; encoding: [0x0f,0x08,0x00,0xc4,0x00,0x00,0x00,0x00]

exp mrt0 v0, v0, v0, v0 nocompr
// CHECK: exp mrt0, v0, v0, v0, v0                ; encoding: [0x0f,0x00,0x00,0xc4,0x00,0x00,0x00,0x00]


exp mrt0 v0, v0, v0, v0 nodone
// CHECK: exp mrt0, v0, v0, v0, v0                ; encoding: [0x0f,0x00,0x00,0xc4,0x00,0x00,0x00,0x00]


exp mrt0 v0, v0, v0, v0 nodone nocompr novm
// CHECK: exp mrt0, v0, v0, v0, v0                ; encoding: [0x0f,0x00,0x00,0xc4,0x00,0x00,0x00,0x00]

exp mrt0 v0, v0, v0, v0 novm
// CHECK: exp mrt0, v0, v0, v0, v0                ; encoding: [0x0f,0x00,0x00,0xc4,0x00,0x00,0x00,0x00]

exp mrt0 v0, v0, v0, v0 vm
// CHECK: exp mrt0, v0, v0, v0, v0 vm             ; encoding: [0x0f,0x10,0x00,0xc4,0x00,0x00,0x00,0x00]

exp mrt0 v0, v0, v0, v255
// CHECK: exp mrt0, v0, v0, v0, v255              ; encoding: [0x0f,0x00,0x00,0xc4,0x00,0x00,0x00,0xff]

exp mrt0 v0, v0, v255, v0
// CHECK: exp mrt0, v0, v0, v255, v0              ; encoding: [0x0f,0x00,0x00,0xc4,0x00,0x00,0xff,0x00]
	;; [unrolled: 3-line block ×4, first 2 shown]

exp mrtz v0, v0, v0, v0
// CHECK: exp mrtz, v0, v0, v0, v0                ; encoding: [0x8f,0x00,0x00,0xc4,0x00,0x00,0x00,0x00]

exp mrtz v0, v0, v0, v0 compr
// CHECK: exp mrtz, v0, v0, v0, v0 compr          ; encoding: [0x8f,0x04,0x00,0xc4,0x00,0x00,0x00,0x00]


exp mrtz v0, v0, v0, v0 done
// CHECK: exp mrtz, v0, v0, v0, v0 done           ; encoding: [0x8f,0x08,0x00,0xc4,0x00,0x00,0x00,0x00]

exp mrtz v0, v0, v0, v0 nocompr
// CHECK: exp mrtz, v0, v0, v0, v0                ; encoding: [0x8f,0x00,0x00,0xc4,0x00,0x00,0x00,0x00]

exp mrtz v0, v0, v0, v0 nodone
// CHECK: exp mrtz, v0, v0, v0, v0                ; encoding: [0x8f,0x00,0x00,0xc4,0x00,0x00,0x00,0x00]

exp mrtz v0, v0, v0, v0 nodone nocompr novm
// CHECK: exp mrtz, v0, v0, v0, v0                ; encoding: [0x8f,0x00,0x00,0xc4,0x00,0x00,0x00,0x00]

exp mrtz v0, v0, v0, v0 novm
// CHECK: exp mrtz, v0, v0, v0, v0                ; encoding: [0x8f,0x00,0x00,0xc4,0x00,0x00,0x00,0x00]

exp mrtz v0, v0, v0, v0 vm
// CHECK: exp mrtz, v0, v0, v0, v0 vm             ; encoding: [0x8f,0x10,0x00,0xc4,0x00,0x00,0x00,0x00]

exp null v0, v0, v0, v0
// CHECK: exp null, v0, v0, v0, v0                ; encoding: [0x9f,0x00,0x00,0xc4,0x00,0x00,0x00,0x00]

exp null v0, v0, v0, v0 compr
// CHECK: exp null, v0, v0, v0, v0 compr          ; encoding: [0x9f,0x04,0x00,0xc4,0x00,0x00,0x00,0x00]


exp null v0, v0, v0, v0 done
// CHECK: exp null, v0, v0, v0, v0 done           ; encoding: [0x9f,0x08,0x00,0xc4,0x00,0x00,0x00,0x00]

exp null v0, v0, v0, v0 nocompr
// CHECK: exp null, v0, v0, v0, v0                ; encoding: [0x9f,0x00,0x00,0xc4,0x00,0x00,0x00,0x00]

exp null v0, v0, v0, v0 nodone
// CHECK: exp null, v0, v0, v0, v0                ; encoding: [0x9f,0x00,0x00,0xc4,0x00,0x00,0x00,0x00]

exp null v0, v0, v0, v0 nodone nocompr novm
// CHECK: exp null, v0, v0, v0, v0                ; encoding: [0x9f,0x00,0x00,0xc4,0x00,0x00,0x00,0x00]

exp null v0, v0, v0, v0 novm
// CHECK: exp null, v0, v0, v0, v0                ; encoding: [0x9f,0x00,0x00,0xc4,0x00,0x00,0x00,0x00]

exp null v0, v0, v0, v0 vm
// CHECK: exp null, v0, v0, v0, v0 vm             ; encoding: [0x9f,0x10,0x00,0xc4,0x00,0x00,0x00,0x00]

exp param0 v0, v0, v0, v0
// CHECK: exp param0, v0, v0, v0, v0              ; encoding: [0x0f,0x02,0x00,0xc4,0x00,0x00,0x00,0x00]

exp param0 v0, v0, v0, v0 compr
// CHECK: exp param0, v0, v0, v0, v0 compr        ; encoding: [0x0f,0x06,0x00,0xc4,0x00,0x00,0x00,0x00]


exp param0 v0, v0, v0, v0 done
// CHECK: exp param0, v0, v0, v0, v0 done         ; encoding: [0x0f,0x0a,0x00,0xc4,0x00,0x00,0x00,0x00]

exp param0 v0, v0, v0, v0 nocompr
// CHECK: exp param0, v0, v0, v0, v0              ; encoding: [0x0f,0x02,0x00,0xc4,0x00,0x00,0x00,0x00]

exp param0 v0, v0, v0, v0 nodone
// CHECK: exp param0, v0, v0, v0, v0              ; encoding: [0x0f,0x02,0x00,0xc4,0x00,0x00,0x00,0x00]

exp param0 v0, v0, v0, v0 nodone nocompr novm
// CHECK: exp param0, v0, v0, v0, v0              ; encoding: [0x0f,0x02,0x00,0xc4,0x00,0x00,0x00,0x00]

exp param0 v0, v0, v0, v0 novm
// CHECK: exp param0, v0, v0, v0, v0              ; encoding: [0x0f,0x02,0x00,0xc4,0x00,0x00,0x00,0x00]

exp param0 v0, v0, v0, v0 vm
// CHECK: exp param0, v0, v0, v0, v0 vm           ; encoding: [0x0f,0x12,0x00,0xc4,0x00,0x00,0x00,0x00]

exp pos0 v0, v0, v0, v0
// CHECK: exp pos0, v0, v0, v0, v0                ; encoding: [0xcf,0x00,0x00,0xc4,0x00,0x00,0x00,0x00]

exp pos0 v0, v0, v0, v0 compr
// CHECK: exp pos0, v0, v0, v0, v0 compr          ; encoding: [0xcf,0x04,0x00,0xc4,0x00,0x00,0x00,0x00]


exp pos0 v0, v0, v0, v0 done
// CHECK: exp pos0, v0, v0, v0, v0 done           ; encoding: [0xcf,0x08,0x00,0xc4,0x00,0x00,0x00,0x00]

exp pos0 v0, v0, v0, v0 nocompr
// CHECK: exp pos0, v0, v0, v0, v0                ; encoding: [0xcf,0x00,0x00,0xc4,0x00,0x00,0x00,0x00]

exp pos0 v0, v0, v0, v0 nodone
// CHECK: exp pos0, v0, v0, v0, v0                ; encoding: [0xcf,0x00,0x00,0xc4,0x00,0x00,0x00,0x00]

exp pos0 v0, v0, v0, v0 nodone nocompr novm
// CHECK: exp pos0, v0, v0, v0, v0                ; encoding: [0xcf,0x00,0x00,0xc4,0x00,0x00,0x00,0x00]

exp pos0 v0, v0, v0, v0 novm
// CHECK: exp pos0, v0, v0, v0, v0                ; encoding: [0xcf,0x00,0x00,0xc4,0x00,0x00,0x00,0x00]

exp pos0 v0, v0, v0, v0 vm
// CHECK: exp pos0, v0, v0, v0, v0 vm             ; encoding: [0xcf,0x10,0x00,0xc4,0x00,0x00,0x00,0x00]
